;; amdgpu-corpus repo=ROCm/rocFFT kind=compiled arch=gfx950 opt=O3
	.text
	.amdgcn_target "amdgcn-amd-amdhsa--gfx950"
	.amdhsa_code_object_version 6
	.protected	bluestein_single_fwd_len13_dim1_dp_op_CI_CI ; -- Begin function bluestein_single_fwd_len13_dim1_dp_op_CI_CI
	.globl	bluestein_single_fwd_len13_dim1_dp_op_CI_CI
	.p2align	8
	.type	bluestein_single_fwd_len13_dim1_dp_op_CI_CI,@function
bluestein_single_fwd_len13_dim1_dp_op_CI_CI: ; @bluestein_single_fwd_len13_dim1_dp_op_CI_CI
; %bb.0:
	s_load_dwordx4 s[4:7], s[0:1], 0x28
	v_lshl_or_b32 v2, s2, 6, v0
	v_mov_b32_e32 v3, 0
	s_waitcnt lgkmcnt(0)
	v_cmp_gt_u64_e32 vcc, s[4:5], v[2:3]
	s_and_saveexec_b64 s[2:3], vcc
	s_cbranch_execz .LBB0_2
; %bb.1:
	s_load_dwordx2 s[4:5], s[0:1], 0x0
	s_load_dwordx4 s[8:11], s[0:1], 0x18
	s_load_dwordx2 s[2:3], s[0:1], 0x38
	v_mov_b32_e32 v4, s6
	v_mov_b32_e32 v5, s7
	s_waitcnt lgkmcnt(0)
	s_load_dwordx16 s[72:87], s[4:5], 0x0
	s_load_dwordx4 s[12:15], s[10:11], 0x0
	s_load_dwordx4 s[52:55], s[8:9], 0x0
	v_mul_u32_u24_e32 v66, 0xd0, v0
	s_load_dwordx16 s[16:31], s[4:5], 0x40
	v_mov_b32_e32 v68, 0x50
	s_waitcnt lgkmcnt(0)
	v_mad_u64_u32 v[50:51], s[0:1], s14, v2, 0
	v_mov_b32_e32 v6, v51
	v_mad_u64_u32 v[6:7], s[0:1], s15, v2, v[6:7]
	v_mov_b32_e32 v51, v6
	v_mad_u64_u32 v[6:7], s[0:1], s54, v2, 0
	v_mov_b32_e32 v8, v7
	v_mad_u64_u32 v[2:3], s[0:1], s55, v2, v[8:9]
	v_mov_b32_e32 v7, v2
	v_lshl_add_u64 v[2:3], v[6:7], 4, v[4:5]
	global_load_dwordx4 v[4:7], v[2:3], off
	s_lshl_b64 s[0:1], s[52:53], 5
	v_mov_b32_e32 v69, 0x60
	v_mov_b32_e32 v67, 0x70
	s_load_dwordx16 s[36:51], s[4:5], 0x80
	v_mov_b32_e32 v71, 0x90
	v_mov_b32_e32 v73, 0xa0
	;; [unrolled: 1-line block ×4, first 2 shown]
                                        ; implicit-def: $vgpr112 : SGPR spill to VGPR lane
	v_mov_b32_e32 v48, s2
	v_writelane_b32 v112, s4, 0
	v_mov_b32_e32 v49, s3
	s_mov_b32 s98, 0x4267c47c
	v_writelane_b32 v112, s5, 1
	s_mov_b32 s70, 0x42a4c3d2
	s_mov_b32 s68, 0x66966769
	;; [unrolled: 1-line block ×23, first 2 shown]
	s_mov_b32 vcc_hi, 0x3fedeba7
	s_mov_b32 vcc_lo, s6
	s_mov_b32 s91, 0x3fcea1e5
	s_mov_b32 s93, 0x3fea55e2
	;; [unrolled: 1-line block ×3, first 2 shown]
	s_waitcnt vmcnt(0)
	v_mul_f64 v[0:1], v[4:5], s[74:75]
	v_mul_f64 v[8:9], v[6:7], s[74:75]
	v_fma_f64 v[10:11], v[6:7], s[72:73], -v[0:1]
	v_lshl_add_u64 v[0:1], s[52:53], 4, v[2:3]
	v_fmac_f64_e32 v[8:9], s[72:73], v[4:5]
	global_load_dwordx4 v[4:7], v[0:1], off
	ds_write_b128 v66, v[8:11]
	s_waitcnt vmcnt(0)
	v_mul_f64 v[0:1], v[4:5], s[78:79]
	v_mul_f64 v[8:9], v[6:7], s[78:79]
	v_fma_f64 v[10:11], v[6:7], s[76:77], -v[0:1]
	v_lshl_add_u64 v[0:1], v[2:3], 0, s[0:1]
	v_fmac_f64_e32 v[8:9], s[76:77], v[4:5]
	global_load_dwordx4 v[4:7], v[0:1], off
	ds_write_b128 v66, v[8:11] offset:16
	s_waitcnt vmcnt(0)
	v_mul_f64 v[0:1], v[4:5], s[82:83]
	v_mul_f64 v[8:9], v[6:7], s[82:83]
	v_fma_f64 v[10:11], v[6:7], s[80:81], -v[0:1]
	v_mad_u64_u32 v[0:1], s[0:1], s52, 48, v[2:3]
	v_fmac_f64_e32 v[8:9], s[80:81], v[4:5]
	v_mov_b32_e32 v4, v1
	v_mad_u64_u32 v[4:5], s[0:1], s53, 48, v[4:5]
	v_mov_b32_e32 v1, v4
	global_load_dwordx4 v[4:7], v[0:1], off
	s_lshl_b64 s[0:1], s[52:53], 6
	ds_write_b128 v66, v[8:11] offset:32
	s_waitcnt vmcnt(0)
	v_mul_f64 v[0:1], v[4:5], s[86:87]
	v_mul_f64 v[8:9], v[6:7], s[86:87]
	v_fma_f64 v[10:11], v[6:7], s[84:85], -v[0:1]
	v_lshl_add_u64 v[0:1], v[2:3], 0, s[0:1]
	v_fmac_f64_e32 v[8:9], s[84:85], v[4:5]
	global_load_dwordx4 v[4:7], v[0:1], off
	ds_write_b128 v66, v[8:11] offset:48
	s_waitcnt vmcnt(0)
	v_mul_f64 v[0:1], v[4:5], s[18:19]
	v_fma_f64 v[10:11], v[6:7], s[16:17], -v[0:1]
	v_mad_u64_u32 v[0:1], s[0:1], s52, v68, v[2:3]
	s_mul_i32 s0, s53, 0x50
	v_mul_f64 v[8:9], v[6:7], s[18:19]
	v_add_u32_e32 v1, s0, v1
	v_fmac_f64_e32 v[8:9], s[16:17], v[4:5]
	global_load_dwordx4 v[4:7], v[0:1], off
	ds_write_b128 v66, v[8:11] offset:64
	s_waitcnt vmcnt(0)
	v_mul_f64 v[0:1], v[4:5], s[22:23]
	v_fma_f64 v[10:11], v[6:7], s[20:21], -v[0:1]
	v_mad_u64_u32 v[0:1], s[0:1], s52, v69, v[2:3]
	s_mul_i32 s0, s53, 0x60
	v_mul_f64 v[8:9], v[6:7], s[22:23]
	v_add_u32_e32 v1, s0, v1
	;; [unrolled: 10-line block ×3, first 2 shown]
	v_fmac_f64_e32 v[8:9], s[24:25], v[4:5]
	global_load_dwordx4 v[4:7], v[0:1], off
	s_lshl_b64 s[0:1], s[52:53], 7
	ds_write_b128 v66, v[8:11] offset:96
	s_waitcnt vmcnt(0)
	v_mul_f64 v[0:1], v[4:5], s[30:31]
	v_mul_f64 v[8:9], v[6:7], s[30:31]
	v_fma_f64 v[10:11], v[6:7], s[28:29], -v[0:1]
	v_lshl_add_u64 v[0:1], v[2:3], 0, s[0:1]
	v_fmac_f64_e32 v[8:9], s[28:29], v[4:5]
	global_load_dwordx4 v[4:7], v[0:1], off
	ds_write_b128 v66, v[8:11] offset:112
	s_waitcnt vmcnt(0) lgkmcnt(0)
	v_mul_f64 v[0:1], v[4:5], s[38:39]
	v_fma_f64 v[10:11], v[6:7], s[36:37], -v[0:1]
	v_mad_u64_u32 v[0:1], s[0:1], s52, v71, v[2:3]
	s_mul_i32 s0, s53, 0x90
	v_mul_f64 v[8:9], v[6:7], s[38:39]
	v_add_u32_e32 v1, s0, v1
	v_fmac_f64_e32 v[8:9], s[36:37], v[4:5]
	global_load_dwordx4 v[4:7], v[0:1], off
	ds_write_b128 v66, v[8:11] offset:128
	s_waitcnt vmcnt(0)
	v_mul_f64 v[0:1], v[4:5], s[42:43]
	v_fma_f64 v[10:11], v[6:7], s[40:41], -v[0:1]
	v_mad_u64_u32 v[0:1], s[0:1], s52, v73, v[2:3]
	s_mul_i32 s0, s53, 0xa0
	v_mul_f64 v[8:9], v[6:7], s[42:43]
	v_add_u32_e32 v1, s0, v1
	v_fmac_f64_e32 v[8:9], s[40:41], v[4:5]
	global_load_dwordx4 v[4:7], v[0:1], off
	ds_write_b128 v66, v[8:11] offset:144
	s_waitcnt vmcnt(0)
	;; [unrolled: 10-line block ×3, first 2 shown]
	v_mul_f64 v[0:1], v[4:5], s[50:51]
	v_fma_f64 v[10:11], v[6:7], s[48:49], -v[0:1]
	v_mad_u64_u32 v[0:1], s[0:1], s52, v72, v[2:3]
	s_mul_i32 s0, s53, 0xc0
	s_nop 0
	v_add_u32_e32 v1, s0, v1
	global_load_dwordx4 v[0:3], v[0:1], off
	s_load_dwordx16 s[52:67], s[4:5], 0xc0
	v_mul_f64 v[8:9], v[6:7], s[50:51]
	v_fmac_f64_e32 v[8:9], s[48:49], v[4:5]
	ds_write_b128 v66, v[8:11] offset:176
	s_mov_b32 s4, 0x4bc48dbf
	s_mov_b32 s5, 0xbfcea1e5
	;; [unrolled: 1-line block ×5, first 2 shown]
	s_waitcnt vmcnt(0) lgkmcnt(0)
	v_mul_f64 v[4:5], v[2:3], s[54:55]
	v_fmac_f64_e32 v[4:5], s[52:53], v[0:1]
	v_mul_f64 v[0:1], v[0:1], s[54:55]
	v_fma_f64 v[6:7], v[2:3], s[52:53], -v[0:1]
	ds_write_b128 v66, v[4:7] offset:192
	s_waitcnt lgkmcnt(0)
	; wave barrier
	s_waitcnt lgkmcnt(0)
	ds_read_b128 v[36:39], v66
	ds_read_b128 v[44:47], v66 offset:16
	ds_read_b128 v[32:35], v66 offset:32
	;; [unrolled: 1-line block ×12, first 2 shown]
	s_waitcnt lgkmcnt(11)
	v_add_f64 v[0:1], v[36:37], v[44:45]
	v_add_f64 v[2:3], v[38:39], v[46:47]
	s_waitcnt lgkmcnt(10)
	v_add_f64 v[0:1], v[0:1], v[32:33]
	v_add_f64 v[2:3], v[2:3], v[34:35]
	;; [unrolled: 3-line block ×10, first 2 shown]
	s_waitcnt lgkmcnt(1)
	v_add_f64 v[0:1], v[0:1], v[52:53]
	s_waitcnt lgkmcnt(0)
	v_add_f64 v[62:63], v[46:47], v[58:59]
	v_add_f64 v[46:47], v[46:47], -v[58:59]
	v_add_f64 v[2:3], v[2:3], v[54:55]
	v_add_f64 v[0:1], v[0:1], v[56:57]
	;; [unrolled: 1-line block ×3, first 2 shown]
	v_add_f64 v[44:45], v[44:45], -v[56:57]
	v_mul_f64 v[56:57], v[46:47], s[98:99]
	v_mul_f64 v[76:77], v[46:47], s[70:71]
	;; [unrolled: 1-line block ×6, first 2 shown]
	v_add_f64 v[2:3], v[2:3], v[58:59]
	v_fma_f64 v[58:59], v[60:61], s[96:97], -v[56:57]
	v_mul_f64 v[64:65], v[44:45], s[98:99]
	v_fmac_f64_e32 v[56:57], s[96:97], v[60:61]
	v_fma_f64 v[78:79], v[60:61], s[14:15], -v[76:77]
	v_mul_f64 v[80:81], v[44:45], s[70:71]
	v_fmac_f64_e32 v[76:77], s[14:15], v[60:61]
	;; [unrolled: 3-line block ×6, first 2 shown]
	v_add_f64 v[58:59], v[36:37], v[58:59]
	v_fma_f64 v[74:75], s[96:97], v[62:63], v[64:65]
	v_add_f64 v[56:57], v[36:37], v[56:57]
	v_fma_f64 v[64:65], v[62:63], s[96:97], -v[64:65]
	v_add_f64 v[78:79], v[36:37], v[78:79]
	v_fma_f64 v[82:83], s[14:15], v[62:63], v[80:81]
	v_add_f64 v[76:77], v[36:37], v[76:77]
	v_fma_f64 v[80:81], v[62:63], s[14:15], -v[80:81]
	;; [unrolled: 4-line block ×6, first 2 shown]
	v_add_f64 v[46:47], v[34:35], v[54:55]
	v_add_f64 v[34:35], v[34:35], -v[54:55]
	v_add_f64 v[74:75], v[38:39], v[74:75]
	v_add_f64 v[64:65], v[38:39], v[64:65]
	;; [unrolled: 1-line block ×13, first 2 shown]
	v_add_f64 v[32:33], v[32:33], -v[52:53]
	v_mul_f64 v[52:53], v[34:35], s[70:71]
	v_fma_f64 v[54:55], v[44:45], s[14:15], -v[52:53]
	v_add_f64 v[54:55], v[54:55], v[58:59]
	v_mul_f64 v[58:59], v[32:33], s[70:71]
	v_fmac_f64_e32 v[52:53], s[14:15], v[44:45]
	v_fma_f64 v[60:61], s[14:15], v[46:47], v[58:59]
	v_add_f64 v[52:53], v[52:53], v[56:57]
	v_fma_f64 v[56:57], v[46:47], s[14:15], -v[58:59]
	v_mul_f64 v[58:59], v[34:35], s[6:7]
	v_add_f64 v[56:57], v[56:57], v[64:65]
	v_fma_f64 v[62:63], v[44:45], s[34:35], -v[58:59]
	v_mul_f64 v[64:65], v[32:33], s[6:7]
	v_fmac_f64_e32 v[58:59], s[34:35], v[44:45]
	v_add_f64 v[60:61], v[60:61], v[74:75]
	v_fma_f64 v[74:75], s[34:35], v[46:47], v[64:65]
	v_add_f64 v[58:59], v[58:59], v[76:77]
	v_fma_f64 v[64:65], v[46:47], s[34:35], -v[64:65]
	v_mul_f64 v[76:77], v[34:35], s[4:5]
	v_add_f64 v[62:63], v[62:63], v[78:79]
	v_add_f64 v[64:65], v[64:65], v[80:81]
	v_fma_f64 v[78:79], v[44:45], s[0:1], -v[76:77]
	v_mul_f64 v[80:81], v[32:33], s[4:5]
	v_fmac_f64_e32 v[76:77], s[0:1], v[44:45]
	v_add_f64 v[74:75], v[74:75], v[82:83]
	v_fma_f64 v[82:83], s[0:1], v[46:47], v[80:81]
	v_add_f64 v[76:77], v[76:77], v[84:85]
	v_fma_f64 v[80:81], v[46:47], s[0:1], -v[80:81]
	v_mul_f64 v[84:85], v[34:35], s[94:95]
	v_add_f64 v[78:79], v[78:79], v[86:87]
	v_add_f64 v[80:81], v[80:81], v[88:89]
	v_fma_f64 v[86:87], v[44:45], s[88:89], -v[84:85]
	v_mul_f64 v[88:89], v[32:33], s[94:95]
	v_fmac_f64_e32 v[84:85], s[88:89], v[44:45]
	v_add_f64 v[82:83], v[82:83], v[90:91]
	v_fma_f64 v[90:91], s[88:89], v[46:47], v[88:89]
	v_add_f64 v[84:85], v[84:85], v[92:93]
	v_fma_f64 v[88:89], v[46:47], s[88:89], -v[88:89]
	v_mul_f64 v[92:93], v[34:35], s[8:9]
	s_mov_b32 s99, 0x3fddbe06
	v_add_f64 v[86:87], v[86:87], v[94:95]
	v_add_f64 v[88:89], v[88:89], v[96:97]
	v_fma_f64 v[94:95], v[44:45], s[10:11], -v[92:93]
	v_mul_f64 v[96:97], v[32:33], s[8:9]
	v_mul_f64 v[32:33], v[32:33], s[98:99]
	v_add_f64 v[94:95], v[94:95], v[102:103]
	v_fmac_f64_e32 v[92:93], s[10:11], v[44:45]
	v_mul_f64 v[34:35], v[34:35], s[98:99]
	v_fma_f64 v[102:103], s[96:97], v[46:47], v[32:33]
	v_fma_f64 v[32:33], v[46:47], s[96:97], -v[32:33]
	v_add_f64 v[92:93], v[92:93], v[100:101]
	v_fma_f64 v[100:101], v[44:45], s[96:97], -v[34:35]
	v_fmac_f64_e32 v[34:35], s[96:97], v[44:45]
	v_add_f64 v[32:33], v[32:33], v[38:39]
	v_add_f64 v[38:39], v[26:27], v[42:43]
	v_add_f64 v[26:27], v[26:27], -v[42:43]
	v_add_f64 v[34:35], v[34:35], v[36:37]
	v_add_f64 v[36:37], v[24:25], v[40:41]
	v_add_f64 v[24:25], v[24:25], -v[40:41]
	v_mul_f64 v[40:41], v[26:27], s[68:69]
	v_fma_f64 v[42:43], v[36:37], s[10:11], -v[40:41]
	v_fmac_f64_e32 v[40:41], s[10:11], v[36:37]
	v_mul_f64 v[44:45], v[24:25], s[68:69]
	v_add_f64 v[40:41], v[40:41], v[52:53]
	v_mul_f64 v[52:53], v[26:27], s[4:5]
	v_add_f64 v[90:91], v[90:91], v[98:99]
	v_fma_f64 v[98:99], s[10:11], v[46:47], v[96:97]
	v_fma_f64 v[96:97], v[46:47], s[10:11], -v[96:97]
	v_add_f64 v[42:43], v[42:43], v[54:55]
	v_fma_f64 v[46:47], s[10:11], v[38:39], v[44:45]
	v_fma_f64 v[44:45], v[38:39], s[10:11], -v[44:45]
	v_fma_f64 v[54:55], v[36:37], s[0:1], -v[52:53]
	v_fmac_f64_e32 v[52:53], s[0:1], v[36:37]
	v_add_f64 v[44:45], v[44:45], v[56:57]
	v_mul_f64 v[56:57], v[24:25], s[4:5]
	v_add_f64 v[52:53], v[52:53], v[58:59]
	v_mul_f64 v[58:59], v[26:27], vcc
	v_add_f64 v[46:47], v[46:47], v[60:61]
	v_add_f64 v[54:55], v[54:55], v[62:63]
	v_fma_f64 v[60:61], s[0:1], v[38:39], v[56:57]
	v_fma_f64 v[56:57], v[38:39], s[0:1], -v[56:57]
	v_fma_f64 v[62:63], v[36:37], s[34:35], -v[58:59]
	v_fmac_f64_e32 v[58:59], s[34:35], v[36:37]
	v_add_f64 v[56:57], v[56:57], v[64:65]
	v_mul_f64 v[64:65], v[24:25], vcc
	v_add_f64 v[58:59], v[58:59], v[76:77]
	v_mul_f64 v[76:77], v[26:27], s[98:99]
	v_add_f64 v[60:61], v[60:61], v[74:75]
	v_add_f64 v[62:63], v[62:63], v[78:79]
	v_fma_f64 v[74:75], s[34:35], v[38:39], v[64:65]
	v_fma_f64 v[64:65], v[38:39], s[34:35], -v[64:65]
	v_fma_f64 v[78:79], v[36:37], s[96:97], -v[76:77]
	v_fmac_f64_e32 v[76:77], s[96:97], v[36:37]
	v_add_f64 v[64:65], v[64:65], v[80:81]
	v_mul_f64 v[80:81], v[24:25], s[98:99]
	v_add_f64 v[76:77], v[76:77], v[84:85]
	v_mul_f64 v[84:85], v[26:27], s[70:71]
	v_add_f64 v[74:75], v[74:75], v[82:83]
	v_add_f64 v[78:79], v[78:79], v[86:87]
	v_fma_f64 v[82:83], s[96:97], v[38:39], v[80:81]
	v_fma_f64 v[80:81], v[38:39], s[96:97], -v[80:81]
	v_fma_f64 v[86:87], v[36:37], s[14:15], -v[84:85]
	v_fmac_f64_e32 v[84:85], s[14:15], v[36:37]
	v_mul_f64 v[26:27], v[26:27], s[2:3]
	v_add_f64 v[80:81], v[80:81], v[88:89]
	v_mul_f64 v[88:89], v[24:25], s[70:71]
	v_add_f64 v[84:85], v[84:85], v[92:93]
	v_fma_f64 v[92:93], v[36:37], s[88:89], -v[26:27]
	v_mul_f64 v[24:25], v[24:25], s[2:3]
	v_fmac_f64_e32 v[26:27], s[88:89], v[36:37]
	v_add_f64 v[86:87], v[86:87], v[94:95]
	v_fma_f64 v[94:95], s[88:89], v[38:39], v[24:25]
	v_add_f64 v[26:27], v[26:27], v[34:35]
	v_fma_f64 v[24:25], v[38:39], s[88:89], -v[24:25]
	v_add_f64 v[34:35], v[22:23], v[30:31]
	v_add_f64 v[22:23], v[22:23], -v[30:31]
	v_add_f64 v[24:25], v[24:25], v[32:33]
	v_add_f64 v[32:33], v[20:21], v[28:29]
	v_add_f64 v[20:21], v[20:21], -v[28:29]
	v_mul_f64 v[28:29], v[22:23], s[6:7]
	v_fma_f64 v[30:31], v[32:33], s[34:35], -v[28:29]
	v_fmac_f64_e32 v[28:29], s[34:35], v[32:33]
	v_mul_f64 v[36:37], v[20:21], s[6:7]
	v_add_f64 v[28:29], v[28:29], v[40:41]
	v_mul_f64 v[40:41], v[22:23], s[94:95]
	v_add_f64 v[82:83], v[82:83], v[90:91]
	v_fma_f64 v[90:91], s[14:15], v[38:39], v[88:89]
	v_fma_f64 v[88:89], v[38:39], s[14:15], -v[88:89]
	v_add_f64 v[30:31], v[30:31], v[42:43]
	v_fma_f64 v[38:39], s[34:35], v[34:35], v[36:37]
	v_fma_f64 v[36:37], v[34:35], s[34:35], -v[36:37]
	v_fma_f64 v[42:43], v[32:33], s[88:89], -v[40:41]
	v_fmac_f64_e32 v[40:41], s[88:89], v[32:33]
	v_add_f64 v[36:37], v[36:37], v[44:45]
	v_mul_f64 v[44:45], v[20:21], s[94:95]
	v_add_f64 v[40:41], v[40:41], v[52:53]
	v_mul_f64 v[52:53], v[22:23], s[98:99]
	v_add_f64 v[38:39], v[38:39], v[46:47]
	v_add_f64 v[42:43], v[42:43], v[54:55]
	v_fma_f64 v[46:47], s[88:89], v[34:35], v[44:45]
	v_fma_f64 v[44:45], v[34:35], s[88:89], -v[44:45]
	v_fma_f64 v[54:55], v[32:33], s[96:97], -v[52:53]
	v_fmac_f64_e32 v[52:53], s[96:97], v[32:33]
	v_add_f64 v[44:45], v[44:45], v[56:57]
	v_mul_f64 v[56:57], v[20:21], s[98:99]
	v_add_f64 v[52:53], v[52:53], v[58:59]
	v_mul_f64 v[58:59], v[22:23], s[68:69]
	v_add_f64 v[46:47], v[46:47], v[60:61]
	;; [unrolled: 10-line block ×3, first 2 shown]
	v_add_f64 v[62:63], v[62:63], v[78:79]
	v_fma_f64 v[74:75], s[10:11], v[34:35], v[64:65]
	v_fma_f64 v[64:65], v[34:35], s[10:11], -v[64:65]
	v_fma_f64 v[78:79], v[32:33], s[0:1], -v[76:77]
	v_fmac_f64_e32 v[76:77], s[0:1], v[32:33]
	v_mul_f64 v[22:23], v[22:23], s[92:93]
	v_add_f64 v[64:65], v[64:65], v[80:81]
	v_mul_f64 v[80:81], v[20:21], s[90:91]
	v_add_f64 v[76:77], v[76:77], v[84:85]
	v_fma_f64 v[84:85], v[32:33], s[14:15], -v[22:23]
	v_mul_f64 v[20:21], v[20:21], s[92:93]
	v_fmac_f64_e32 v[22:23], s[14:15], v[32:33]
	v_add_f64 v[78:79], v[78:79], v[86:87]
	v_fma_f64 v[86:87], s[14:15], v[34:35], v[20:21]
	v_add_f64 v[22:23], v[22:23], v[26:27]
	v_fma_f64 v[20:21], v[34:35], s[14:15], -v[20:21]
	v_add_f64 v[26:27], v[14:15], v[18:19]
	v_add_f64 v[14:15], v[14:15], -v[18:19]
	v_add_f64 v[20:21], v[20:21], v[24:25]
	v_add_f64 v[24:25], v[12:13], v[16:17]
	v_add_f64 v[12:13], v[12:13], -v[16:17]
	v_mul_f64 v[16:17], v[14:15], s[2:3]
	v_fma_f64 v[18:19], v[24:25], s[88:89], -v[16:17]
	v_add_f64 v[18:19], v[18:19], v[30:31]
	v_mul_f64 v[30:31], v[12:13], s[2:3]
	v_fmac_f64_e32 v[16:17], s[88:89], v[24:25]
	v_fma_f64 v[32:33], s[88:89], v[26:27], v[30:31]
	v_add_f64 v[16:17], v[16:17], v[28:29]
	v_fma_f64 v[28:29], v[26:27], s[88:89], -v[30:31]
	v_mul_f64 v[30:31], v[14:15], s[8:9]
	v_add_f64 v[74:75], v[74:75], v[82:83]
	v_fma_f64 v[82:83], s[0:1], v[34:35], v[80:81]
	v_fma_f64 v[80:81], v[34:35], s[0:1], -v[80:81]
	v_add_f64 v[28:29], v[28:29], v[36:37]
	v_fma_f64 v[34:35], v[24:25], s[10:11], -v[30:31]
	v_mul_f64 v[36:37], v[12:13], s[8:9]
	v_fmac_f64_e32 v[30:31], s[10:11], v[24:25]
	v_add_f64 v[32:33], v[32:33], v[38:39]
	v_fma_f64 v[38:39], s[10:11], v[26:27], v[36:37]
	v_add_f64 v[30:31], v[30:31], v[40:41]
	v_fma_f64 v[36:37], v[26:27], s[10:11], -v[36:37]
	v_mul_f64 v[40:41], v[14:15], s[70:71]
	v_add_f64 v[34:35], v[34:35], v[42:43]
	v_add_f64 v[36:37], v[36:37], v[44:45]
	v_fma_f64 v[42:43], v[24:25], s[14:15], -v[40:41]
	v_mul_f64 v[44:45], v[12:13], s[70:71]
	v_fmac_f64_e32 v[40:41], s[14:15], v[24:25]
	v_add_f64 v[38:39], v[38:39], v[46:47]
	v_fma_f64 v[46:47], s[14:15], v[26:27], v[44:45]
	v_add_f64 v[40:41], v[40:41], v[52:53]
	v_fma_f64 v[44:45], v[26:27], s[14:15], -v[44:45]
	v_mul_f64 v[52:53], v[14:15], s[90:91]
	v_add_f64 v[42:43], v[42:43], v[54:55]
	v_add_f64 v[44:45], v[44:45], v[56:57]
	v_fma_f64 v[54:55], v[24:25], s[0:1], -v[52:53]
	v_mul_f64 v[56:57], v[12:13], s[90:91]
	v_fmac_f64_e32 v[52:53], s[0:1], v[24:25]
	v_add_f64 v[98:99], v[98:99], v[106:107]
	v_add_f64 v[96:97], v[96:97], v[104:105]
	;; [unrolled: 1-line block ×5, first 2 shown]
	v_fma_f64 v[60:61], s[0:1], v[26:27], v[56:57]
	v_add_f64 v[52:53], v[52:53], v[58:59]
	v_fma_f64 v[56:57], v[26:27], s[0:1], -v[56:57]
	v_mul_f64 v[58:59], v[14:15], s[98:99]
	v_add_f64 v[90:91], v[90:91], v[98:99]
	v_add_f64 v[88:89], v[88:89], v[96:97]
	;; [unrolled: 1-line block ×6, first 2 shown]
	v_fma_f64 v[62:63], v[24:25], s[96:97], -v[58:59]
	v_mul_f64 v[64:65], v[12:13], s[98:99]
	v_fmac_f64_e32 v[58:59], s[96:97], v[24:25]
	v_mul_f64 v[14:15], v[14:15], s[6:7]
	v_mul_f64 v[12:13], v[12:13], s[6:7]
	v_add_f64 v[82:83], v[82:83], v[90:91]
	v_add_f64 v[80:81], v[80:81], v[88:89]
	;; [unrolled: 1-line block ×6, first 2 shown]
	v_fma_f64 v[76:77], v[24:25], s[34:35], -v[14:15]
	v_fma_f64 v[78:79], s[34:35], v[26:27], v[12:13]
	v_add_f64 v[88:89], v[4:5], -v[8:9]
	v_add_f64 v[90:91], v[6:7], -v[10:11]
	v_add_f64 v[76:77], v[76:77], v[84:85]
	v_add_f64 v[78:79], v[78:79], v[86:87]
	;; [unrolled: 1-line block ×4, first 2 shown]
	v_mul_f64 v[8:9], v[90:91], s[4:5]
	v_mul_f64 v[10:11], v[88:89], s[4:5]
	v_fma_f64 v[4:5], v[84:85], s[0:1], -v[8:9]
	v_fma_f64 v[6:7], s[0:1], v[86:87], v[10:11]
	v_fmac_f64_e32 v[8:9], s[0:1], v[84:85]
	v_add_f64 v[60:61], v[60:61], v[74:75]
	v_fma_f64 v[74:75], s[96:97], v[26:27], v[64:65]
	v_fmac_f64_e32 v[14:15], s[34:35], v[24:25]
	v_fma_f64 v[12:13], v[26:27], s[34:35], -v[12:13]
	v_add_f64 v[6:7], v[6:7], v[32:33]
	v_add_f64 v[8:9], v[8:9], v[16:17]
	v_fma_f64 v[10:11], v[86:87], s[0:1], -v[10:11]
	v_mul_f64 v[16:17], v[90:91], s[98:99]
	v_mul_f64 v[24:25], v[90:91], s[2:3]
	;; [unrolled: 1-line block ×3, first 2 shown]
	v_add_f64 v[74:75], v[74:75], v[82:83]
	v_fma_f64 v[64:65], v[26:27], s[96:97], -v[64:65]
	v_add_f64 v[82:83], v[12:13], v[20:21]
	v_add_f64 v[4:5], v[4:5], v[18:19]
	;; [unrolled: 1-line block ×3, first 2 shown]
	v_fma_f64 v[12:13], v[84:85], s[96:97], -v[16:17]
	v_mul_f64 v[18:19], v[88:89], s[98:99]
	v_fma_f64 v[20:21], v[84:85], s[88:89], -v[24:25]
	v_mul_f64 v[26:27], v[88:89], s[2:3]
	v_fmac_f64_e32 v[24:25], s[88:89], v[84:85]
	v_fma_f64 v[28:29], v[84:85], s[14:15], -v[32:33]
	v_fmac_f64_e32 v[32:33], s[14:15], v[84:85]
	v_add_f64 v[64:65], v[64:65], v[80:81]
	v_add_f64 v[80:81], v[14:15], v[22:23]
	;; [unrolled: 1-line block ×3, first 2 shown]
	v_fma_f64 v[14:15], s[96:97], v[86:87], v[18:19]
	v_fmac_f64_e32 v[16:17], s[96:97], v[84:85]
	v_fma_f64 v[18:19], v[86:87], s[96:97], -v[18:19]
	v_add_f64 v[20:21], v[20:21], v[42:43]
	v_fma_f64 v[22:23], s[88:89], v[86:87], v[26:27]
	v_add_f64 v[24:25], v[24:25], v[40:41]
	v_fma_f64 v[26:27], v[86:87], s[88:89], -v[26:27]
	v_add_f64 v[28:29], v[28:29], v[54:55]
	v_mul_f64 v[34:35], v[88:89], s[92:93]
	v_add_f64 v[32:33], v[32:33], v[52:53]
	v_mul_f64 v[40:41], v[90:91], s[6:7]
	v_mul_f64 v[42:43], v[88:89], s[6:7]
	;; [unrolled: 1-line block ×4, first 2 shown]
	v_add_f64 v[14:15], v[14:15], v[38:39]
	v_add_f64 v[16:17], v[16:17], v[30:31]
	;; [unrolled: 1-line block ×5, first 2 shown]
	v_fma_f64 v[30:31], s[14:15], v[86:87], v[34:35]
	v_fma_f64 v[34:35], v[86:87], s[14:15], -v[34:35]
	v_fma_f64 v[36:37], v[84:85], s[34:35], -v[40:41]
	v_fma_f64 v[38:39], s[34:35], v[86:87], v[42:43]
	v_fmac_f64_e32 v[40:41], s[34:35], v[84:85]
	v_fma_f64 v[42:43], v[86:87], s[34:35], -v[42:43]
	v_fma_f64 v[44:45], v[84:85], s[10:11], -v[52:53]
	v_fma_f64 v[46:47], s[10:11], v[86:87], v[54:55]
	v_fmac_f64_e32 v[52:53], s[10:11], v[84:85]
	v_fma_f64 v[54:55], v[86:87], s[10:11], -v[54:55]
	v_add_f64 v[30:31], v[30:31], v[60:61]
	v_add_f64 v[34:35], v[34:35], v[56:57]
	;; [unrolled: 1-line block ×10, first 2 shown]
	ds_write_b128 v66, v[0:3]
	ds_write_b128 v66, v[4:7] offset:16
	ds_write_b128 v66, v[12:15] offset:32
	;; [unrolled: 1-line block ×12, first 2 shown]
	s_waitcnt lgkmcnt(0)
	; wave barrier
	s_waitcnt lgkmcnt(0)
	ds_read_b128 v[0:3], v66
	ds_read_b128 v[4:7], v66 offset:16
	ds_read_b128 v[8:11], v66 offset:32
	;; [unrolled: 1-line block ×3, first 2 shown]
	v_readlane_b32 s2, v112, 0
	s_waitcnt lgkmcnt(3)
	v_mul_f64 v[16:17], v[2:3], s[58:59]
	v_mul_f64 v[18:19], v[0:1], s[58:59]
	v_fma_f64 v[16:17], v[0:1], s[56:57], -v[16:17]
	v_fmac_f64_e32 v[18:19], s[56:57], v[2:3]
	s_waitcnt lgkmcnt(2)
	v_mul_f64 v[0:1], v[6:7], s[62:63]
	v_mul_f64 v[2:3], v[4:5], s[62:63]
	v_fma_f64 v[0:1], v[4:5], s[60:61], -v[0:1]
	v_fmac_f64_e32 v[2:3], s[60:61], v[6:7]
	ds_write_b128 v66, v[0:3] offset:16
	s_waitcnt lgkmcnt(2)
	v_mul_f64 v[0:1], v[10:11], s[66:67]
	v_mul_f64 v[2:3], v[8:9], s[66:67]
	v_readlane_b32 s3, v112, 1
	v_fma_f64 v[0:1], v[8:9], s[64:65], -v[0:1]
	v_fmac_f64_e32 v[2:3], s[64:65], v[10:11]
	s_load_dwordx16 s[56:71], s[2:3], 0x100
	ds_write_b128 v66, v[0:3] offset:32
	ds_write_b128 v66, v[16:19]
	s_waitcnt lgkmcnt(0)
	v_mul_f64 v[0:1], v[14:15], s[58:59]
	v_mul_f64 v[2:3], v[12:13], s[58:59]
	v_fma_f64 v[0:1], v[12:13], s[56:57], -v[0:1]
	v_fmac_f64_e32 v[2:3], s[56:57], v[14:15]
	ds_write_b128 v66, v[0:3] offset:48
	ds_read_b128 v[0:3], v66 offset:64
	s_waitcnt lgkmcnt(0)
	v_mul_f64 v[4:5], v[2:3], s[62:63]
	v_mul_f64 v[6:7], v[0:1], s[62:63]
	v_fma_f64 v[4:5], v[0:1], s[60:61], -v[4:5]
	v_fmac_f64_e32 v[6:7], s[60:61], v[2:3]
	ds_read_b128 v[0:3], v66 offset:80
	ds_write_b128 v66, v[4:7] offset:64
	s_waitcnt lgkmcnt(1)
	v_mul_f64 v[4:5], v[2:3], s[66:67]
	v_mul_f64 v[6:7], v[0:1], s[66:67]
	v_fma_f64 v[4:5], v[0:1], s[64:65], -v[4:5]
	v_fmac_f64_e32 v[6:7], s[64:65], v[2:3]
	ds_read_b128 v[0:3], v66 offset:96
	ds_write_b128 v66, v[4:7] offset:80
	s_waitcnt lgkmcnt(1)
	v_mul_f64 v[4:5], v[2:3], s[70:71]
	v_mul_f64 v[6:7], v[0:1], s[70:71]
	v_fma_f64 v[4:5], v[0:1], s[68:69], -v[4:5]
	v_fmac_f64_e32 v[6:7], s[68:69], v[2:3]
	ds_read_b128 v[0:3], v66 offset:112
	s_load_dwordx16 s[56:71], s[2:3], 0x140
	ds_write_b128 v66, v[4:7] offset:96
	s_waitcnt lgkmcnt(0)
	v_mul_f64 v[4:5], v[2:3], s[58:59]
	v_mul_f64 v[6:7], v[0:1], s[58:59]
	v_fma_f64 v[4:5], v[0:1], s[56:57], -v[4:5]
	v_fmac_f64_e32 v[6:7], s[56:57], v[2:3]
	ds_read_b128 v[0:3], v66 offset:128
	ds_write_b128 v66, v[4:7] offset:112
	s_waitcnt lgkmcnt(1)
	v_mul_f64 v[4:5], v[2:3], s[62:63]
	v_mul_f64 v[6:7], v[0:1], s[62:63]
	v_fma_f64 v[4:5], v[0:1], s[60:61], -v[4:5]
	v_fmac_f64_e32 v[6:7], s[60:61], v[2:3]
	ds_read_b128 v[0:3], v66 offset:144
	ds_write_b128 v66, v[4:7] offset:128
	s_load_dwordx8 s[56:63], s[2:3], 0x180
	s_mov_b32 s2, 0x24c2f84
	s_mov_b32 s3, 0xbfe5384d
	s_waitcnt lgkmcnt(0)
	v_mul_f64 v[4:5], v[2:3], s[66:67]
	v_mul_f64 v[6:7], v[0:1], s[66:67]
	v_fma_f64 v[4:5], v[0:1], s[64:65], -v[4:5]
	v_fmac_f64_e32 v[6:7], s[64:65], v[2:3]
	ds_read_b128 v[0:3], v66 offset:160
	ds_write_b128 v66, v[4:7] offset:144
	s_waitcnt lgkmcnt(1)
	v_mul_f64 v[4:5], v[2:3], s[70:71]
	v_mul_f64 v[6:7], v[0:1], s[70:71]
	v_fma_f64 v[4:5], v[0:1], s[68:69], -v[4:5]
	v_fmac_f64_e32 v[6:7], s[68:69], v[2:3]
	ds_read_b128 v[0:3], v66 offset:176
	ds_write_b128 v66, v[4:7] offset:160
	;; [unrolled: 7-line block ×3, first 2 shown]
	s_mov_b32 s56, 0x4267c47c
	s_mov_b32 s57, 0xbfddbe06
	s_mov_b32 s58, 0x42a4c3d2
	s_waitcnt lgkmcnt(1)
	v_mul_f64 v[4:5], v[2:3], s[62:63]
	v_mul_f64 v[6:7], v[0:1], s[62:63]
	v_fma_f64 v[4:5], v[0:1], s[60:61], -v[4:5]
	v_fmac_f64_e32 v[6:7], s[60:61], v[2:3]
	ds_write_b128 v66, v[4:7] offset:192
	s_waitcnt lgkmcnt(0)
	; wave barrier
	s_waitcnt lgkmcnt(0)
	ds_read_b128 v[40:43], v66
	ds_read_b128 v[52:55], v66 offset:16
	ds_read_b128 v[36:39], v66 offset:32
	;; [unrolled: 1-line block ×12, first 2 shown]
	s_waitcnt lgkmcnt(11)
	v_add_f64 v[0:1], v[40:41], v[52:53]
	s_waitcnt lgkmcnt(10)
	v_add_f64 v[0:1], v[0:1], v[36:37]
	;; [unrolled: 2-line block ×5, first 2 shown]
	v_add_f64 v[2:3], v[42:43], v[54:55]
	s_waitcnt lgkmcnt(6)
	v_add_f64 v[0:1], v[0:1], v[4:5]
	v_add_f64 v[2:3], v[2:3], v[38:39]
	s_waitcnt lgkmcnt(5)
	v_add_f64 v[0:1], v[0:1], v[8:9]
	;; [unrolled: 3-line block ×5, first 2 shown]
	s_waitcnt lgkmcnt(0)
	v_add_f64 v[62:63], v[54:55], v[58:59]
	v_add_f64 v[2:3], v[2:3], v[6:7]
	;; [unrolled: 1-line block ×4, first 2 shown]
	v_add_f64 v[52:53], v[52:53], -v[56:57]
	v_add_f64 v[54:55], v[54:55], -v[58:59]
	v_mul_f64 v[64:65], v[62:63], s[96:97]
	v_add_f64 v[2:3], v[2:3], v[10:11]
	v_add_f64 v[0:1], v[0:1], v[56:57]
	v_mul_f64 v[56:57], v[54:55], s[56:57]
	v_fma_f64 v[74:75], s[98:99], v[52:53], v[64:65]
	v_fmac_f64_e32 v[64:65], s[56:57], v[52:53]
	s_mov_b32 s56, 0x42a4c3d2
	v_add_f64 v[2:3], v[2:3], v[18:19]
	s_mov_b32 s57, 0xbfea55e2
	v_mul_f64 v[80:81], v[62:63], s[14:15]
	v_add_f64 v[2:3], v[2:3], v[26:27]
	v_mul_f64 v[76:77], v[54:55], s[56:57]
	v_fma_f64 v[82:83], s[92:93], v[52:53], v[80:81]
	v_fmac_f64_e32 v[80:81], s[56:57], v[52:53]
	s_mov_b32 s56, 0x66966769
	v_add_f64 v[2:3], v[2:3], v[34:35]
	s_mov_b32 s57, 0xbfefc445
	v_add_f64 v[2:3], v[2:3], v[46:47]
	v_mul_f64 v[84:85], v[54:55], s[56:57]
	v_mul_f64 v[92:93], v[54:55], s[6:7]
	;; [unrolled: 1-line block ×4, first 2 shown]
	v_add_f64 v[2:3], v[2:3], v[58:59]
	v_fma_f64 v[58:59], s[96:97], v[60:61], v[56:57]
	v_fma_f64 v[56:57], v[60:61], s[96:97], -v[56:57]
	v_fma_f64 v[78:79], s[14:15], v[60:61], v[76:77]
	v_fma_f64 v[76:77], v[60:61], s[14:15], -v[76:77]
	;; [unrolled: 2-line block ×6, first 2 shown]
	v_add_f64 v[58:59], v[40:41], v[58:59]
	v_add_f64 v[56:57], v[40:41], v[56:57]
	;; [unrolled: 1-line block ×4, first 2 shown]
	s_mov_b32 s59, 0xbfea55e2
	v_add_f64 v[86:87], v[40:41], v[86:87]
	v_mul_f64 v[88:89], v[62:63], s[10:11]
	v_add_f64 v[84:85], v[40:41], v[84:85]
	v_add_f64 v[94:95], v[40:41], v[94:95]
	v_mul_f64 v[96:97], v[62:63], s[34:35]
	v_add_f64 v[92:93], v[40:41], v[92:93]
	;; [unrolled: 3-line block ×4, first 2 shown]
	v_add_f64 v[54:55], v[38:39], v[46:47]
	v_add_f64 v[38:39], v[38:39], -v[46:47]
	v_fma_f64 v[90:91], s[8:9], v[52:53], v[88:89]
	v_fmac_f64_e32 v[88:89], s[56:57], v[52:53]
	v_fma_f64 v[98:99], vcc, v[52:53], v[96:97]
	v_fmac_f64_e32 v[96:97], s[6:7], v[52:53]
	v_fma_f64 v[106:107], s[94:95], v[52:53], v[104:105]
	v_fmac_f64_e32 v[104:105], s[2:3], v[52:53]
	v_fma_f64 v[110:111], s[90:91], v[52:53], v[62:63]
	v_fmac_f64_e32 v[62:63], s[4:5], v[52:53]
	v_add_f64 v[52:53], v[36:37], v[44:45]
	v_add_f64 v[36:37], v[36:37], -v[44:45]
	v_mul_f64 v[44:45], v[38:39], s[58:59]
	v_fma_f64 v[46:47], s[14:15], v[52:53], v[44:45]
	v_add_f64 v[46:47], v[46:47], v[58:59]
	v_mul_f64 v[58:59], v[54:55], s[14:15]
	v_add_f64 v[64:65], v[42:43], v[64:65]
	v_fma_f64 v[60:61], s[92:93], v[36:37], v[58:59]
	v_fma_f64 v[44:45], v[52:53], s[14:15], -v[44:45]
	v_fmac_f64_e32 v[58:59], s[58:59], v[36:37]
	v_add_f64 v[44:45], v[44:45], v[56:57]
	v_add_f64 v[56:57], v[58:59], v[64:65]
	v_mul_f64 v[58:59], v[38:39], s[6:7]
	v_add_f64 v[74:75], v[42:43], v[74:75]
	v_add_f64 v[82:83], v[42:43], v[82:83]
	;; [unrolled: 1-line block ×11, first 2 shown]
	v_fma_f64 v[62:63], s[34:35], v[52:53], v[58:59]
	v_mul_f64 v[64:65], v[54:55], s[34:35]
	v_fma_f64 v[58:59], v[52:53], s[34:35], -v[58:59]
	v_add_f64 v[60:61], v[60:61], v[74:75]
	v_fma_f64 v[74:75], vcc, v[36:37], v[64:65]
	v_add_f64 v[58:59], v[58:59], v[76:77]
	v_fmac_f64_e32 v[64:65], s[6:7], v[36:37]
	v_mul_f64 v[76:77], v[38:39], s[4:5]
	v_add_f64 v[62:63], v[62:63], v[78:79]
	v_add_f64 v[64:65], v[64:65], v[80:81]
	v_fma_f64 v[78:79], s[0:1], v[52:53], v[76:77]
	v_mul_f64 v[80:81], v[54:55], s[0:1]
	v_fma_f64 v[76:77], v[52:53], s[0:1], -v[76:77]
	v_add_f64 v[74:75], v[74:75], v[82:83]
	v_fma_f64 v[82:83], s[90:91], v[36:37], v[80:81]
	v_add_f64 v[76:77], v[76:77], v[84:85]
	v_fmac_f64_e32 v[80:81], s[4:5], v[36:37]
	v_mul_f64 v[84:85], v[38:39], s[94:95]
	v_add_f64 v[78:79], v[78:79], v[86:87]
	v_add_f64 v[80:81], v[80:81], v[88:89]
	v_fma_f64 v[86:87], s[88:89], v[52:53], v[84:85]
	v_mul_f64 v[88:89], v[54:55], s[88:89]
	v_fma_f64 v[84:85], v[52:53], s[88:89], -v[84:85]
	s_mov_b32 s60, 0x4267c47c
	v_add_f64 v[82:83], v[82:83], v[90:91]
	v_fma_f64 v[90:91], s[2:3], v[36:37], v[88:89]
	v_add_f64 v[84:85], v[84:85], v[92:93]
	v_fmac_f64_e32 v[88:89], s[94:95], v[36:37]
	v_mul_f64 v[92:93], v[38:39], s[8:9]
	s_mov_b32 s61, 0xbfddbe06
	v_add_f64 v[86:87], v[86:87], v[94:95]
	v_add_f64 v[88:89], v[88:89], v[96:97]
	v_fma_f64 v[94:95], s[10:11], v[52:53], v[92:93]
	v_mul_f64 v[96:97], v[54:55], s[10:11]
	v_fma_f64 v[92:93], v[52:53], s[10:11], -v[92:93]
	v_mul_f64 v[38:39], v[38:39], s[98:99]
	v_mul_f64 v[54:55], v[54:55], s[96:97]
	v_add_f64 v[90:91], v[90:91], v[98:99]
	v_add_f64 v[94:95], v[94:95], v[102:103]
	v_fma_f64 v[98:99], s[56:57], v[36:37], v[96:97]
	v_add_f64 v[92:93], v[92:93], v[100:101]
	v_fmac_f64_e32 v[96:97], s[8:9], v[36:37]
	v_fma_f64 v[100:101], s[96:97], v[52:53], v[38:39]
	v_fma_f64 v[102:103], s[60:61], v[36:37], v[54:55]
	v_fma_f64 v[38:39], v[52:53], s[96:97], -v[38:39]
	v_fmac_f64_e32 v[54:55], s[98:99], v[36:37]
	v_add_f64 v[36:37], v[28:29], v[32:33]
	v_add_f64 v[28:29], v[28:29], -v[32:33]
	v_add_f64 v[32:33], v[30:31], -v[34:35]
	v_add_f64 v[38:39], v[38:39], v[40:41]
	v_add_f64 v[40:41], v[54:55], v[42:43]
	;; [unrolled: 1-line block ×3, first 2 shown]
	v_mul_f64 v[30:31], v[32:33], s[56:57]
	v_fma_f64 v[34:35], s[10:11], v[36:37], v[30:31]
	v_add_f64 v[46:47], v[34:35], v[46:47]
	v_mul_f64 v[34:35], v[42:43], s[10:11]
	v_fma_f64 v[30:31], v[36:37], s[10:11], -v[30:31]
	v_fma_f64 v[52:53], s[8:9], v[28:29], v[34:35]
	v_add_f64 v[44:45], v[30:31], v[44:45]
	v_fmac_f64_e32 v[34:35], s[56:57], v[28:29]
	v_mul_f64 v[30:31], v[32:33], s[4:5]
	v_add_f64 v[54:55], v[34:35], v[56:57]
	v_fma_f64 v[34:35], s[0:1], v[36:37], v[30:31]
	v_add_f64 v[56:57], v[34:35], v[62:63]
	v_mul_f64 v[34:35], v[42:43], s[0:1]
	v_fma_f64 v[30:31], v[36:37], s[0:1], -v[30:31]
	v_add_f64 v[52:53], v[52:53], v[60:61]
	v_fma_f64 v[60:61], s[90:91], v[28:29], v[34:35]
	v_add_f64 v[58:59], v[30:31], v[58:59]
	v_fmac_f64_e32 v[34:35], s[4:5], v[28:29]
	v_mul_f64 v[30:31], v[32:33], vcc
	v_add_f64 v[62:63], v[34:35], v[64:65]
	v_fma_f64 v[34:35], s[34:35], v[36:37], v[30:31]
	v_add_f64 v[64:65], v[34:35], v[78:79]
	v_mul_f64 v[34:35], v[42:43], s[34:35]
	v_fma_f64 v[30:31], v[36:37], s[34:35], -v[30:31]
	v_add_f64 v[60:61], v[60:61], v[74:75]
	v_fma_f64 v[74:75], s[6:7], v[28:29], v[34:35]
	v_add_f64 v[76:77], v[30:31], v[76:77]
	v_fmac_f64_e32 v[34:35], vcc, v[28:29]
	v_mul_f64 v[30:31], v[32:33], s[98:99]
	v_add_f64 v[78:79], v[34:35], v[80:81]
	v_fma_f64 v[34:35], s[96:97], v[36:37], v[30:31]
	v_add_f64 v[80:81], v[34:35], v[86:87]
	v_mul_f64 v[34:35], v[42:43], s[96:97]
	v_fma_f64 v[30:31], v[36:37], s[96:97], -v[30:31]
	v_add_f64 v[74:75], v[74:75], v[82:83]
	v_fma_f64 v[82:83], s[60:61], v[28:29], v[34:35]
	v_add_f64 v[84:85], v[30:31], v[84:85]
	v_fmac_f64_e32 v[34:35], s[98:99], v[28:29]
	v_mul_f64 v[30:31], v[32:33], s[58:59]
	v_add_f64 v[86:87], v[34:35], v[88:89]
	v_fma_f64 v[34:35], s[14:15], v[36:37], v[30:31]
	v_add_f64 v[88:89], v[34:35], v[94:95]
	v_mul_f64 v[34:35], v[42:43], s[14:15]
	v_add_f64 v[96:97], v[96:97], v[104:105]
	v_add_f64 v[82:83], v[82:83], v[90:91]
	v_fma_f64 v[90:91], s[92:93], v[28:29], v[34:35]
	v_fma_f64 v[30:31], v[36:37], s[14:15], -v[30:31]
	v_fmac_f64_e32 v[34:35], s[58:59], v[28:29]
	v_mul_f64 v[94:95], v[32:33], s[2:3]
	v_mul_f64 v[42:43], v[42:43], s[88:89]
	v_add_f64 v[92:93], v[30:31], v[92:93]
	v_add_f64 v[30:31], v[34:35], v[96:97]
	v_fma_f64 v[32:33], s[88:89], v[36:37], v[94:95]
	v_fma_f64 v[34:35], s[94:95], v[28:29], v[42:43]
	v_fma_f64 v[36:37], v[36:37], s[88:89], -v[94:95]
	v_fmac_f64_e32 v[42:43], s[2:3], v[28:29]
	v_add_f64 v[36:37], v[36:37], v[38:39]
	v_add_f64 v[38:39], v[42:43], v[40:41]
	;; [unrolled: 1-line block ×3, first 2 shown]
	v_add_f64 v[22:23], v[22:23], -v[26:27]
	v_add_f64 v[40:41], v[20:21], v[24:25]
	v_add_f64 v[20:21], v[20:21], -v[24:25]
	v_mul_f64 v[24:25], v[22:23], s[6:7]
	v_fma_f64 v[26:27], s[34:35], v[40:41], v[24:25]
	v_mul_f64 v[28:29], v[42:43], s[34:35]
	v_add_f64 v[26:27], v[26:27], v[46:47]
	v_fma_f64 v[46:47], vcc, v[20:21], v[28:29]
	v_fma_f64 v[24:25], v[40:41], s[34:35], -v[24:25]
	v_fmac_f64_e32 v[28:29], s[6:7], v[20:21]
	v_add_f64 v[24:25], v[24:25], v[44:45]
	v_add_f64 v[44:45], v[28:29], v[54:55]
	v_mul_f64 v[28:29], v[22:23], s[94:95]
	v_add_f64 v[46:47], v[46:47], v[52:53]
	v_fma_f64 v[52:53], s[88:89], v[40:41], v[28:29]
	v_mul_f64 v[54:55], v[42:43], s[88:89]
	v_fma_f64 v[28:29], v[40:41], s[88:89], -v[28:29]
	v_add_f64 v[52:53], v[52:53], v[56:57]
	v_fma_f64 v[56:57], s[2:3], v[20:21], v[54:55]
	v_add_f64 v[58:59], v[28:29], v[58:59]
	v_fmac_f64_e32 v[54:55], s[94:95], v[20:21]
	v_mul_f64 v[28:29], v[22:23], s[98:99]
	v_add_f64 v[56:57], v[56:57], v[60:61]
	v_add_f64 v[54:55], v[54:55], v[62:63]
	v_fma_f64 v[60:61], s[96:97], v[40:41], v[28:29]
	v_mul_f64 v[62:63], v[42:43], s[96:97]
	v_fma_f64 v[28:29], v[40:41], s[96:97], -v[28:29]
	v_add_f64 v[60:61], v[60:61], v[64:65]
	v_fma_f64 v[64:65], s[60:61], v[20:21], v[62:63]
	v_add_f64 v[76:77], v[28:29], v[76:77]
	v_mul_f64 v[28:29], v[22:23], s[56:57]
	v_add_f64 v[74:75], v[64:65], v[74:75]
	v_fmac_f64_e32 v[62:63], s[98:99], v[20:21]
	v_fma_f64 v[64:65], s[10:11], v[40:41], v[28:29]
	v_add_f64 v[62:63], v[62:63], v[78:79]
	v_add_f64 v[78:79], v[64:65], v[80:81]
	v_mul_f64 v[64:65], v[42:43], s[10:11]
	v_fma_f64 v[80:81], s[8:9], v[20:21], v[64:65]
	v_fma_f64 v[28:29], v[40:41], s[10:11], -v[28:29]
	v_fmac_f64_e32 v[64:65], s[56:57], v[20:21]
	v_add_f64 v[80:81], v[80:81], v[82:83]
	v_add_f64 v[82:83], v[28:29], v[84:85]
	;; [unrolled: 1-line block ×3, first 2 shown]
	v_mul_f64 v[64:65], v[22:23], s[90:91]
	v_add_f64 v[98:99], v[98:99], v[106:107]
	v_fma_f64 v[84:85], s[0:1], v[40:41], v[64:65]
	v_mul_f64 v[86:87], v[42:43], s[0:1]
	v_add_f64 v[100:101], v[100:101], v[108:109]
	v_add_f64 v[90:91], v[90:91], v[98:99]
	;; [unrolled: 1-line block ×3, first 2 shown]
	v_fma_f64 v[88:89], s[4:5], v[20:21], v[86:87]
	v_fma_f64 v[64:65], v[40:41], s[0:1], -v[64:65]
	v_mul_f64 v[22:23], v[22:23], s[92:93]
	v_add_f64 v[102:103], v[102:103], v[110:111]
	v_add_f64 v[32:33], v[32:33], v[100:101]
	v_add_f64 v[88:89], v[88:89], v[90:91]
	v_add_f64 v[90:91], v[64:65], v[92:93]
	v_fma_f64 v[64:65], s[14:15], v[40:41], v[22:23]
	v_mul_f64 v[42:43], v[42:43], s[14:15]
	v_add_f64 v[34:35], v[34:35], v[102:103]
	v_fmac_f64_e32 v[86:87], s[90:91], v[20:21]
	v_add_f64 v[32:33], v[64:65], v[32:33]
	v_fma_f64 v[64:65], s[58:59], v[20:21], v[42:43]
	v_add_f64 v[30:31], v[86:87], v[30:31]
	v_add_f64 v[86:87], v[64:65], v[34:35]
	v_add_f64 v[34:35], v[14:15], -v[18:19]
	v_add_f64 v[94:95], v[12:13], v[16:17]
	v_add_f64 v[98:99], v[12:13], -v[16:17]
	v_mul_f64 v[12:13], v[34:35], s[2:3]
	v_fmac_f64_e32 v[42:43], s[92:93], v[20:21]
	v_add_f64 v[96:97], v[14:15], v[18:19]
	v_fma_f64 v[14:15], s[88:89], v[94:95], v[12:13]
	v_fma_f64 v[12:13], v[94:95], s[88:89], -v[12:13]
	v_fma_f64 v[22:23], v[40:41], s[14:15], -v[22:23]
	v_add_f64 v[92:93], v[42:43], v[38:39]
	v_add_f64 v[104:105], v[12:13], v[24:25]
	v_mul_f64 v[24:25], v[34:35], s[58:59]
	v_mul_f64 v[38:39], v[96:97], s[14:15]
	v_add_f64 v[36:37], v[22:23], v[36:37]
	v_fma_f64 v[20:21], s[14:15], v[94:95], v[24:25]
	v_fma_f64 v[22:23], s[92:93], v[98:99], v[38:39]
	v_fma_f64 v[24:25], v[94:95], s[14:15], -v[24:25]
	v_fmac_f64_e32 v[38:39], s[58:59], v[98:99]
	v_add_f64 v[100:101], v[14:15], v[26:27]
	v_add_f64 v[26:27], v[24:25], v[76:77]
	;; [unrolled: 1-line block ×3, first 2 shown]
	v_mul_f64 v[38:39], v[34:35], s[90:91]
	v_mul_f64 v[14:15], v[96:97], s[88:89]
	v_fma_f64 v[40:41], s[0:1], v[94:95], v[38:39]
	v_fma_f64 v[16:17], s[94:95], v[98:99], v[14:15]
	v_fmac_f64_e32 v[14:15], s[2:3], v[98:99]
	v_mul_f64 v[18:19], v[96:97], s[10:11]
	v_add_f64 v[42:43], v[40:41], v[78:79]
	v_mul_f64 v[40:41], v[96:97], s[0:1]
	v_add_f64 v[102:103], v[16:17], v[46:47]
	v_add_f64 v[64:65], v[14:15], v[44:45]
	v_mul_f64 v[16:17], v[34:35], s[8:9]
	v_fma_f64 v[14:15], s[56:57], v[98:99], v[18:19]
	v_fma_f64 v[44:45], s[4:5], v[98:99], v[40:41]
	v_fmac_f64_e32 v[40:41], s[90:91], v[98:99]
	v_fma_f64 v[12:13], s[10:11], v[94:95], v[16:17]
	v_add_f64 v[14:15], v[14:15], v[56:57]
	v_fma_f64 v[38:39], v[94:95], s[0:1], -v[38:39]
	v_add_f64 v[56:57], v[40:41], v[28:29]
	v_mul_f64 v[28:29], v[34:35], s[98:99]
	v_add_f64 v[12:13], v[12:13], v[52:53]
	v_fmac_f64_e32 v[18:19], s[8:9], v[98:99]
	v_add_f64 v[52:53], v[44:45], v[80:81]
	v_add_f64 v[44:45], v[38:39], v[82:83]
	v_fma_f64 v[38:39], s[96:97], v[94:95], v[28:29]
	v_add_f64 v[18:19], v[18:19], v[54:55]
	v_add_f64 v[54:55], v[38:39], v[84:85]
	v_mul_f64 v[38:39], v[96:97], s[96:97]
	v_fma_f64 v[40:41], s[60:61], v[98:99], v[38:39]
	v_fma_f64 v[28:29], v[94:95], s[96:97], -v[28:29]
	v_fma_f64 v[16:17], v[94:95], s[10:11], -v[16:17]
	v_add_f64 v[46:47], v[40:41], v[88:89]
	v_add_f64 v[40:41], v[28:29], v[90:91]
	v_fmac_f64_e32 v[38:39], s[98:99], v[98:99]
	v_mul_f64 v[28:29], v[34:35], s[6:7]
	v_add_f64 v[16:17], v[16:17], v[58:59]
	v_add_f64 v[38:39], v[38:39], v[30:31]
	v_fma_f64 v[30:31], s[34:35], v[94:95], v[28:29]
	v_mul_f64 v[58:59], v[96:97], s[34:35]
	v_add_f64 v[20:21], v[20:21], v[60:61]
	v_add_f64 v[34:35], v[30:31], v[32:33]
	v_fma_f64 v[30:31], vcc, v[98:99], v[58:59]
	v_fma_f64 v[28:29], v[94:95], s[34:35], -v[28:29]
	v_fmac_f64_e32 v[58:59], s[6:7], v[98:99]
	v_add_f64 v[60:61], v[6:7], v[10:11]
	v_add_f64 v[32:33], v[30:31], v[86:87]
	;; [unrolled: 1-line block ×4, first 2 shown]
	v_add_f64 v[58:59], v[4:5], -v[8:9]
	v_add_f64 v[62:63], v[6:7], -v[10:11]
	v_mul_f64 v[10:11], v[60:61], s[0:1]
	v_add_f64 v[22:23], v[22:23], v[74:75]
	v_add_f64 v[36:37], v[4:5], v[8:9]
	v_fma_f64 v[6:7], s[90:91], v[58:59], v[10:11]
	v_fmac_f64_e32 v[10:11], s[4:5], v[58:59]
	v_mul_f64 v[74:75], v[62:63], s[98:99]
	v_add_f64 v[10:11], v[10:11], v[64:65]
	v_fma_f64 v[64:65], s[96:97], v[36:37], v[74:75]
	v_add_f64 v[12:13], v[64:65], v[12:13]
	v_mul_f64 v[64:65], v[60:61], s[96:97]
	v_fma_f64 v[74:75], v[36:37], s[96:97], -v[74:75]
	v_fma_f64 v[76:77], s[60:61], v[58:59], v[64:65]
	v_add_f64 v[16:17], v[74:75], v[16:17]
	v_fmac_f64_e32 v[64:65], s[98:99], v[58:59]
	v_mul_f64 v[74:75], v[62:63], s[2:3]
	v_add_f64 v[18:19], v[64:65], v[18:19]
	v_fma_f64 v[64:65], s[88:89], v[36:37], v[74:75]
	v_add_f64 v[20:21], v[64:65], v[20:21]
	v_mul_f64 v[64:65], v[60:61], s[88:89]
	v_add_f64 v[14:15], v[76:77], v[14:15]
	v_fma_f64 v[76:77], s[94:95], v[58:59], v[64:65]
	v_fmac_f64_e32 v[64:65], s[2:3], v[58:59]
	v_add_f64 v[22:23], v[76:77], v[22:23]
	v_add_f64 v[76:77], v[64:65], v[24:25]
	v_mul_f64 v[64:65], v[62:63], s[92:93]
	v_fma_f64 v[74:75], v[36:37], s[88:89], -v[74:75]
	v_fma_f64 v[24:25], s[14:15], v[36:37], v[64:65]
	v_mul_f64 v[78:79], v[60:61], s[14:15]
	v_add_f64 v[74:75], v[74:75], v[26:27]
	v_add_f64 v[24:25], v[24:25], v[42:43]
	v_fma_f64 v[26:27], s[58:59], v[58:59], v[78:79]
	v_fma_f64 v[42:43], v[36:37], s[14:15], -v[64:65]
	v_fmac_f64_e32 v[78:79], s[92:93], v[58:59]
	v_add_f64 v[42:43], v[42:43], v[44:45]
	v_add_f64 v[44:45], v[78:79], v[56:57]
	v_mul_f64 v[56:57], v[62:63], s[6:7]
	v_add_f64 v[26:27], v[26:27], v[52:53]
	v_fma_f64 v[52:53], s[34:35], v[36:37], v[56:57]
	v_mul_f64 v[64:65], v[60:61], s[34:35]
	v_add_f64 v[52:53], v[52:53], v[54:55]
	v_fma_f64 v[54:55], vcc, v[58:59], v[64:65]
	v_add_f64 v[54:55], v[54:55], v[46:47]
	v_fma_f64 v[46:47], v[36:37], s[34:35], -v[56:57]
	v_add_f64 v[78:79], v[46:47], v[40:41]
	v_fmac_f64_e32 v[64:65], s[6:7], v[58:59]
	v_mul_f64 v[46:47], v[62:63], s[8:9]
	v_add_f64 v[80:81], v[64:65], v[38:39]
	v_fma_f64 v[38:39], s[10:11], v[36:37], v[46:47]
	v_mul_f64 v[8:9], v[62:63], s[4:5]
	v_add_f64 v[38:39], v[38:39], v[34:35]
	v_mul_f64 v[34:35], v[60:61], s[10:11]
	v_fma_f64 v[4:5], s[0:1], v[36:37], v[8:9]
	v_fma_f64 v[8:9], v[36:37], s[0:1], -v[8:9]
	v_fma_f64 v[40:41], s[56:57], v[58:59], v[34:35]
	v_add_f64 v[4:5], v[4:5], v[100:101]
	v_add_f64 v[6:7], v[6:7], v[102:103]
	;; [unrolled: 1-line block ×4, first 2 shown]
	v_fma_f64 v[32:33], v[36:37], s[10:11], -v[46:47]
	v_fmac_f64_e32 v[34:35], s[8:9], v[58:59]
	v_add_f64 v[30:31], v[32:33], v[30:31]
	v_add_f64 v[32:33], v[34:35], v[28:29]
	ds_write_b128 v66, v[0:3]
	ds_write_b128 v66, v[4:7] offset:16
	ds_write_b128 v66, v[12:15] offset:32
	;; [unrolled: 1-line block ×12, first 2 shown]
	s_waitcnt lgkmcnt(0)
	; wave barrier
	s_waitcnt lgkmcnt(0)
	ds_read_b128 v[0:3], v66
	ds_read_b128 v[4:7], v66 offset:16
	ds_read_b128 v[8:11], v66 offset:32
	;; [unrolled: 1-line block ×3, first 2 shown]
	s_mov_b32 s0, 0x13b13b14
	s_waitcnt lgkmcnt(3)
	v_mul_f64 v[16:17], s[74:75], v[2:3]
	v_fmac_f64_e32 v[16:17], s[72:73], v[0:1]
	v_mul_f64 v[0:1], s[74:75], v[0:1]
	v_fma_f64 v[0:1], s[72:73], v[2:3], -v[0:1]
	s_waitcnt lgkmcnt(2)
	v_mul_f64 v[2:3], s[78:79], v[6:7]
	s_mov_b32 s1, 0x3fb3b13b
	v_fmac_f64_e32 v[2:3], s[76:77], v[4:5]
	v_mul_f64 v[4:5], s[78:79], v[4:5]
	v_mul_f64 v[18:19], v[0:1], s[0:1]
	v_lshl_add_u64 v[0:1], v[50:51], 4, v[48:49]
	v_fma_f64 v[4:5], s[76:77], v[6:7], -v[4:5]
	v_mul_f64 v[16:17], v[16:17], s[0:1]
	v_mul_f64 v[2:3], v[2:3], s[0:1]
	;; [unrolled: 1-line block ×3, first 2 shown]
	v_lshl_add_u64 v[6:7], s[12:13], 4, v[0:1]
	global_store_dwordx4 v[0:1], v[16:19], off
	global_store_dwordx4 v[6:7], v[2:5], off
	s_lshl_b64 s[2:3], s[12:13], 5
	v_lshl_add_u64 v[6:7], v[0:1], 0, s[2:3]
	s_waitcnt lgkmcnt(1)
	v_mul_f64 v[2:3], s[82:83], v[10:11]
	v_mul_f64 v[4:5], s[82:83], v[8:9]
	v_fmac_f64_e32 v[2:3], s[80:81], v[8:9]
	v_fma_f64 v[4:5], s[80:81], v[10:11], -v[4:5]
	v_mul_f64 v[2:3], v[2:3], s[0:1]
	v_mul_f64 v[4:5], v[4:5], s[0:1]
	global_store_dwordx4 v[6:7], v[2:5], off
	v_mad_u64_u32 v[6:7], s[2:3], s12, 48, v[0:1]
	s_waitcnt lgkmcnt(0)
	v_mul_f64 v[2:3], s[86:87], v[14:15]
	v_mul_f64 v[4:5], s[86:87], v[12:13]
	v_mov_b32_e32 v8, v7
	v_fmac_f64_e32 v[2:3], s[84:85], v[12:13]
	v_fma_f64 v[4:5], s[84:85], v[14:15], -v[4:5]
	v_mad_u64_u32 v[8:9], s[2:3], s13, 48, v[8:9]
	v_mul_f64 v[2:3], v[2:3], s[0:1]
	v_mul_f64 v[4:5], v[4:5], s[0:1]
	v_mov_b32_e32 v7, v8
	global_store_dwordx4 v[6:7], v[2:5], off
	ds_read_b128 v[2:5], v66 offset:64
	s_lshl_b64 s[2:3], s[12:13], 6
	s_waitcnt lgkmcnt(0)
	v_mul_f64 v[6:7], s[18:19], v[4:5]
	v_fmac_f64_e32 v[6:7], s[16:17], v[2:3]
	v_mul_f64 v[2:3], s[18:19], v[2:3]
	v_fma_f64 v[2:3], s[16:17], v[4:5], -v[2:3]
	v_mul_f64 v[6:7], v[6:7], s[0:1]
	v_mul_f64 v[8:9], v[2:3], s[0:1]
	v_lshl_add_u64 v[2:3], v[0:1], 0, s[2:3]
	global_store_dwordx4 v[2:3], v[6:9], off
	ds_read_b128 v[2:5], v66 offset:80
	s_waitcnt lgkmcnt(0)
	v_mul_f64 v[6:7], s[22:23], v[4:5]
	v_fmac_f64_e32 v[6:7], s[20:21], v[2:3]
	v_mul_f64 v[2:3], s[22:23], v[2:3]
	v_fma_f64 v[2:3], s[20:21], v[4:5], -v[2:3]
	v_mul_f64 v[8:9], v[2:3], s[0:1]
	v_mad_u64_u32 v[2:3], s[2:3], s12, v68, v[0:1]
	s_mul_i32 s2, s13, 0x50
	v_mul_f64 v[6:7], v[6:7], s[0:1]
	v_add_u32_e32 v3, s2, v3
	global_store_dwordx4 v[2:3], v[6:9], off
	ds_read_b128 v[2:5], v66 offset:96
	s_waitcnt lgkmcnt(0)
	v_mul_f64 v[6:7], s[26:27], v[4:5]
	v_fmac_f64_e32 v[6:7], s[24:25], v[2:3]
	v_mul_f64 v[2:3], s[26:27], v[2:3]
	v_fma_f64 v[2:3], s[24:25], v[4:5], -v[2:3]
	v_mul_f64 v[8:9], v[2:3], s[0:1]
	v_mad_u64_u32 v[2:3], s[2:3], s12, v69, v[0:1]
	s_mul_i32 s2, s13, 0x60
	v_mul_f64 v[6:7], v[6:7], s[0:1]
	v_add_u32_e32 v3, s2, v3
	;; [unrolled: 12-line block ×3, first 2 shown]
	global_store_dwordx4 v[2:3], v[6:9], off
	ds_read_b128 v[2:5], v66 offset:128
	s_lshl_b64 s[2:3], s[12:13], 7
	s_waitcnt lgkmcnt(0)
	v_mul_f64 v[6:7], s[38:39], v[4:5]
	v_fmac_f64_e32 v[6:7], s[36:37], v[2:3]
	v_mul_f64 v[2:3], s[38:39], v[2:3]
	v_fma_f64 v[2:3], s[36:37], v[4:5], -v[2:3]
	v_mul_f64 v[6:7], v[6:7], s[0:1]
	v_mul_f64 v[8:9], v[2:3], s[0:1]
	v_lshl_add_u64 v[2:3], v[0:1], 0, s[2:3]
	global_store_dwordx4 v[2:3], v[6:9], off
	ds_read_b128 v[2:5], v66 offset:144
	s_waitcnt lgkmcnt(0)
	v_mul_f64 v[6:7], s[42:43], v[4:5]
	v_fmac_f64_e32 v[6:7], s[40:41], v[2:3]
	v_mul_f64 v[2:3], s[42:43], v[2:3]
	v_fma_f64 v[2:3], s[40:41], v[4:5], -v[2:3]
	v_mul_f64 v[8:9], v[2:3], s[0:1]
	v_mad_u64_u32 v[2:3], s[2:3], s12, v71, v[0:1]
	s_mul_i32 s2, s13, 0x90
	v_mul_f64 v[6:7], v[6:7], s[0:1]
	v_add_u32_e32 v3, s2, v3
	global_store_dwordx4 v[2:3], v[6:9], off
	ds_read_b128 v[2:5], v66 offset:160
	s_waitcnt lgkmcnt(0)
	v_mul_f64 v[6:7], s[46:47], v[4:5]
	v_fmac_f64_e32 v[6:7], s[44:45], v[2:3]
	v_mul_f64 v[2:3], s[46:47], v[2:3]
	v_fma_f64 v[2:3], s[44:45], v[4:5], -v[2:3]
	v_mul_f64 v[8:9], v[2:3], s[0:1]
	v_mad_u64_u32 v[2:3], s[2:3], s12, v73, v[0:1]
	s_mul_i32 s2, s13, 0xa0
	v_mul_f64 v[6:7], v[6:7], s[0:1]
	v_add_u32_e32 v3, s2, v3
	;; [unrolled: 12-line block ×3, first 2 shown]
	global_store_dwordx4 v[2:3], v[6:9], off
	ds_read_b128 v[2:5], v66 offset:192
	s_waitcnt lgkmcnt(0)
	v_mul_f64 v[6:7], s[54:55], v[4:5]
	v_fmac_f64_e32 v[6:7], s[52:53], v[2:3]
	v_mul_f64 v[2:3], s[54:55], v[2:3]
	v_fma_f64 v[2:3], s[52:53], v[4:5], -v[2:3]
	v_mul_f64 v[6:7], v[6:7], s[0:1]
	v_mul_f64 v[8:9], v[2:3], s[0:1]
	v_mad_u64_u32 v[0:1], s[0:1], s12, v72, v[0:1]
	s_mul_i32 s0, s13, 0xc0
	s_nop 0
	v_add_u32_e32 v1, s0, v1
	global_store_dwordx4 v[0:1], v[6:9], off
.LBB0_2:
	s_endpgm
	.section	.rodata,"a",@progbits
	.p2align	6, 0x0
	.amdhsa_kernel bluestein_single_fwd_len13_dim1_dp_op_CI_CI
		.amdhsa_group_segment_fixed_size 13312
		.amdhsa_private_segment_fixed_size 0
		.amdhsa_kernarg_size 104
		.amdhsa_user_sgpr_count 2
		.amdhsa_user_sgpr_dispatch_ptr 0
		.amdhsa_user_sgpr_queue_ptr 0
		.amdhsa_user_sgpr_kernarg_segment_ptr 1
		.amdhsa_user_sgpr_dispatch_id 0
		.amdhsa_user_sgpr_kernarg_preload_length 0
		.amdhsa_user_sgpr_kernarg_preload_offset 0
		.amdhsa_user_sgpr_private_segment_size 0
		.amdhsa_uses_dynamic_stack 0
		.amdhsa_enable_private_segment 0
		.amdhsa_system_sgpr_workgroup_id_x 1
		.amdhsa_system_sgpr_workgroup_id_y 0
		.amdhsa_system_sgpr_workgroup_id_z 0
		.amdhsa_system_sgpr_workgroup_info 0
		.amdhsa_system_vgpr_workitem_id 0
		.amdhsa_next_free_vgpr 113
		.amdhsa_next_free_sgpr 100
		.amdhsa_accum_offset 116
		.amdhsa_reserve_vcc 1
		.amdhsa_float_round_mode_32 0
		.amdhsa_float_round_mode_16_64 0
		.amdhsa_float_denorm_mode_32 3
		.amdhsa_float_denorm_mode_16_64 3
		.amdhsa_dx10_clamp 1
		.amdhsa_ieee_mode 1
		.amdhsa_fp16_overflow 0
		.amdhsa_tg_split 0
		.amdhsa_exception_fp_ieee_invalid_op 0
		.amdhsa_exception_fp_denorm_src 0
		.amdhsa_exception_fp_ieee_div_zero 0
		.amdhsa_exception_fp_ieee_overflow 0
		.amdhsa_exception_fp_ieee_underflow 0
		.amdhsa_exception_fp_ieee_inexact 0
		.amdhsa_exception_int_div_zero 0
	.end_amdhsa_kernel
	.text
.Lfunc_end0:
	.size	bluestein_single_fwd_len13_dim1_dp_op_CI_CI, .Lfunc_end0-bluestein_single_fwd_len13_dim1_dp_op_CI_CI
                                        ; -- End function
	.section	.AMDGPU.csdata,"",@progbits
; Kernel info:
; codeLenInByte = 9976
; NumSgprs: 106
; NumVgprs: 113
; NumAgprs: 0
; TotalNumVgprs: 113
; ScratchSize: 0
; MemoryBound: 0
; FloatMode: 240
; IeeeMode: 1
; LDSByteSize: 13312 bytes/workgroup (compile time only)
; SGPRBlocks: 13
; VGPRBlocks: 14
; NumSGPRsForWavesPerEU: 106
; NumVGPRsForWavesPerEU: 113
; AccumOffset: 116
; Occupancy: 3
; WaveLimiterHint : 1
; COMPUTE_PGM_RSRC2:SCRATCH_EN: 0
; COMPUTE_PGM_RSRC2:USER_SGPR: 2
; COMPUTE_PGM_RSRC2:TRAP_HANDLER: 0
; COMPUTE_PGM_RSRC2:TGID_X_EN: 1
; COMPUTE_PGM_RSRC2:TGID_Y_EN: 0
; COMPUTE_PGM_RSRC2:TGID_Z_EN: 0
; COMPUTE_PGM_RSRC2:TIDIG_COMP_CNT: 0
; COMPUTE_PGM_RSRC3_GFX90A:ACCUM_OFFSET: 28
; COMPUTE_PGM_RSRC3_GFX90A:TG_SPLIT: 0
	.text
	.p2alignl 6, 3212836864
	.fill 256, 4, 3212836864
	.type	__hip_cuid_da561bffb11084d9,@object ; @__hip_cuid_da561bffb11084d9
	.section	.bss,"aw",@nobits
	.globl	__hip_cuid_da561bffb11084d9
__hip_cuid_da561bffb11084d9:
	.byte	0                               ; 0x0
	.size	__hip_cuid_da561bffb11084d9, 1

	.ident	"AMD clang version 19.0.0git (https://github.com/RadeonOpenCompute/llvm-project roc-6.4.0 25133 c7fe45cf4b819c5991fe208aaa96edf142730f1d)"
	.section	".note.GNU-stack","",@progbits
	.addrsig
	.addrsig_sym __hip_cuid_da561bffb11084d9
	.amdgpu_metadata
---
amdhsa.kernels:
  - .agpr_count:     0
    .args:
      - .actual_access:  read_only
        .address_space:  global
        .offset:         0
        .size:           8
        .value_kind:     global_buffer
      - .actual_access:  read_only
        .address_space:  global
        .offset:         8
        .size:           8
        .value_kind:     global_buffer
      - .actual_access:  read_only
        .address_space:  global
        .offset:         16
        .size:           8
        .value_kind:     global_buffer
      - .actual_access:  read_only
        .address_space:  global
        .offset:         24
        .size:           8
        .value_kind:     global_buffer
      - .actual_access:  read_only
        .address_space:  global
        .offset:         32
        .size:           8
        .value_kind:     global_buffer
      - .offset:         40
        .size:           8
        .value_kind:     by_value
      - .address_space:  global
        .offset:         48
        .size:           8
        .value_kind:     global_buffer
      - .address_space:  global
        .offset:         56
        .size:           8
        .value_kind:     global_buffer
      - .address_space:  global
        .offset:         64
        .size:           8
        .value_kind:     global_buffer
      - .address_space:  global
        .offset:         72
        .size:           8
        .value_kind:     global_buffer
      - .offset:         80
        .size:           4
        .value_kind:     by_value
      - .address_space:  global
        .offset:         88
        .size:           8
        .value_kind:     global_buffer
      - .address_space:  global
        .offset:         96
        .size:           8
        .value_kind:     global_buffer
    .group_segment_fixed_size: 13312
    .kernarg_segment_align: 8
    .kernarg_segment_size: 104
    .language:       OpenCL C
    .language_version:
      - 2
      - 0
    .max_flat_workgroup_size: 64
    .name:           bluestein_single_fwd_len13_dim1_dp_op_CI_CI
    .private_segment_fixed_size: 0
    .sgpr_count:     106
    .sgpr_spill_count: 2
    .symbol:         bluestein_single_fwd_len13_dim1_dp_op_CI_CI.kd
    .uniform_work_group_size: 1
    .uses_dynamic_stack: false
    .vgpr_count:     113
    .vgpr_spill_count: 0
    .wavefront_size: 64
amdhsa.target:   amdgcn-amd-amdhsa--gfx950
amdhsa.version:
  - 1
  - 2
...

	.end_amdgpu_metadata
